;; amdgpu-corpus repo=ROCm/rocFFT kind=compiled arch=gfx906 opt=O3
	.text
	.amdgcn_target "amdgcn-amd-amdhsa--gfx906"
	.amdhsa_code_object_version 6
	.protected	bluestein_single_back_len512_dim1_sp_op_CI_CI ; -- Begin function bluestein_single_back_len512_dim1_sp_op_CI_CI
	.globl	bluestein_single_back_len512_dim1_sp_op_CI_CI
	.p2align	8
	.type	bluestein_single_back_len512_dim1_sp_op_CI_CI,@function
bluestein_single_back_len512_dim1_sp_op_CI_CI: ; @bluestein_single_back_len512_dim1_sp_op_CI_CI
; %bb.0:
	s_load_dwordx4 s[12:15], s[4:5], 0x28
	s_mov_b32 s7, 0
	s_waitcnt lgkmcnt(0)
	v_mov_b32_e32 v1, s12
	v_mov_b32_e32 v2, s13
	v_cmp_lt_u64_e32 vcc, s[6:7], v[1:2]
	s_and_saveexec_b64 s[0:1], vcc
	s_cbranch_execz .LBB0_2
; %bb.1:
	s_load_dwordx4 s[0:3], s[4:5], 0x18
	s_load_dwordx4 s[8:11], s[4:5], 0x0
	v_mov_b32_e32 v42, s7
	v_mov_b32_e32 v41, s6
	v_lshlrev_b32_e32 v46, 3, v0
	s_waitcnt lgkmcnt(0)
	s_load_dwordx4 s[16:19], s[0:1], 0x0
	global_load_dwordx2 v[33:34], v46, s[8:9]
	v_lshlrev_b32_e32 v48, 6, v0
	s_load_dwordx2 s[4:5], s[4:5], 0x38
	s_waitcnt lgkmcnt(0)
	v_mad_u64_u32 v[1:2], s[0:1], s18, v41, 0
	v_mad_u64_u32 v[3:4], s[0:1], s16, v0, 0
	;; [unrolled: 1-line block ×4, first 2 shown]
	v_mov_b32_e32 v2, v5
	v_lshlrev_b64 v[1:2], 3, v[1:2]
	v_mov_b32_e32 v4, v6
	v_mov_b32_e32 v7, s15
	v_lshlrev_b64 v[3:4], 3, v[3:4]
	v_add_co_u32_e32 v1, vcc, s14, v1
	v_addc_co_u32_e32 v2, vcc, v7, v2, vcc
	v_add_co_u32_e32 v1, vcc, v1, v3
	v_addc_co_u32_e32 v2, vcc, v2, v4, vcc
	s_lshl_b64 s[0:1], s[16:17], 9
	global_load_dwordx2 v[3:4], v[1:2], off
	v_mov_b32_e32 v17, s1
	v_add_co_u32_e32 v1, vcc, s0, v1
	v_addc_co_u32_e32 v2, vcc, v2, v17, vcc
	v_add_co_u32_e32 v5, vcc, s0, v1
	v_addc_co_u32_e32 v6, vcc, v2, v17, vcc
	global_load_dwordx2 v[7:8], v[1:2], off
	global_load_dwordx2 v[9:10], v[5:6], off
	v_add_co_u32_e32 v1, vcc, s0, v5
	v_addc_co_u32_e32 v2, vcc, v6, v17, vcc
	v_add_co_u32_e32 v5, vcc, s0, v1
	v_addc_co_u32_e32 v6, vcc, v2, v17, vcc
	global_load_dwordx2 v[39:40], v46, s[8:9] offset:512
	global_load_dwordx2 v[37:38], v46, s[8:9] offset:1024
	;; [unrolled: 1-line block ×3, first 2 shown]
	global_load_dwordx2 v[11:12], v[1:2], off
	global_load_dwordx2 v[13:14], v[5:6], off
	v_add_co_u32_e32 v1, vcc, s0, v5
	v_addc_co_u32_e32 v2, vcc, v6, v17, vcc
	global_load_dwordx2 v[31:32], v46, s[8:9] offset:2048
	global_load_dwordx2 v[5:6], v[1:2], off
	global_load_dwordx2 v[25:26], v46, s[8:9] offset:2560
	v_add_co_u32_e32 v1, vcc, s0, v1
	v_addc_co_u32_e32 v2, vcc, v2, v17, vcc
	global_load_dwordx2 v[15:16], v[1:2], off
	global_load_dwordx2 v[29:30], v46, s[8:9] offset:3072
	v_add_co_u32_e32 v1, vcc, s0, v1
	v_addc_co_u32_e32 v2, vcc, v2, v17, vcc
	global_load_dwordx2 v[27:28], v46, s[8:9] offset:3584
	global_load_dwordx2 v[17:18], v[1:2], off
	s_load_dwordx4 s[0:3], s[2:3], 0x0
	s_waitcnt vmcnt(14)
	v_mul_f32_e32 v1, v4, v34
	v_mul_f32_e32 v2, v3, v34
	v_fmac_f32_e32 v1, v3, v33
	v_fma_f32 v2, v4, v33, -v2
	s_waitcnt vmcnt(11)
	v_mul_f32_e32 v3, v8, v40
	v_mul_f32_e32 v4, v7, v40
	v_fmac_f32_e32 v3, v7, v39
	v_fma_f32 v4, v8, v39, -v4
	s_waitcnt vmcnt(10)
	v_mul_f32_e32 v7, v10, v38
	v_mul_f32_e32 v8, v9, v38
	ds_write2st64_b64 v46, v[1:2], v[3:4] offset1:1
	s_waitcnt vmcnt(8)
	v_mul_f32_e32 v1, v12, v36
	v_mul_f32_e32 v2, v11, v36
	v_fmac_f32_e32 v7, v9, v37
	v_fma_f32 v8, v10, v37, -v8
	v_fmac_f32_e32 v1, v11, v35
	v_fma_f32 v2, v12, v35, -v2
	s_waitcnt vmcnt(6)
	v_mul_f32_e32 v3, v14, v32
	v_mul_f32_e32 v4, v13, v32
	ds_write2st64_b64 v46, v[7:8], v[1:2] offset0:2 offset1:3
	s_waitcnt vmcnt(4)
	v_mul_f32_e32 v1, v6, v26
	v_mul_f32_e32 v2, v5, v26
	v_fmac_f32_e32 v3, v13, v31
	v_fma_f32 v4, v14, v31, -v4
	v_fmac_f32_e32 v1, v5, v25
	v_fma_f32 v2, v6, v25, -v2
	s_waitcnt vmcnt(2)
	v_mul_f32_e32 v5, v16, v30
	v_mul_f32_e32 v6, v15, v30
	ds_write2st64_b64 v46, v[3:4], v[1:2] offset0:4 offset1:5
	s_waitcnt vmcnt(0)
	v_mul_f32_e32 v1, v18, v28
	v_mul_f32_e32 v2, v17, v28
	v_fmac_f32_e32 v5, v15, v29
	v_fma_f32 v6, v16, v29, -v6
	v_fmac_f32_e32 v1, v17, v27
	v_fma_f32 v2, v18, v27, -v2
	ds_write2st64_b64 v46, v[5:6], v[1:2] offset0:6 offset1:7
	s_waitcnt lgkmcnt(0)
	; wave barrier
	s_waitcnt lgkmcnt(0)
	ds_read2st64_b64 v[1:4], v46 offset0:4 offset1:5
	ds_read2st64_b64 v[5:8], v46 offset1:1
	ds_read2st64_b64 v[9:12], v46 offset0:2 offset1:3
	ds_read2st64_b64 v[13:16], v46 offset0:6 offset1:7
	s_waitcnt lgkmcnt(0)
	; wave barrier
	s_waitcnt lgkmcnt(0)
	v_sub_f32_e32 v1, v5, v1
	v_sub_f32_e32 v2, v6, v2
	;; [unrolled: 1-line block ×8, first 2 shown]
	v_fma_f32 v5, v5, 2.0, -v1
	v_fma_f32 v6, v6, 2.0, -v2
	;; [unrolled: 1-line block ×8, first 2 shown]
	v_sub_f32_e32 v19, v1, v14
	v_add_f32_e32 v20, v2, v13
	v_sub_f32_e32 v17, v5, v9
	v_sub_f32_e32 v18, v6, v10
	v_fma_f32 v9, v1, 2.0, -v19
	v_fma_f32 v10, v2, 2.0, -v20
	v_sub_f32_e32 v11, v7, v11
	v_sub_f32_e32 v12, v8, v12
	;; [unrolled: 1-line block ×3, first 2 shown]
	v_add_f32_e32 v15, v4, v15
	v_fma_f32 v1, v7, 2.0, -v11
	v_fma_f32 v2, v8, 2.0, -v12
	;; [unrolled: 1-line block ×4, first 2 shown]
	v_mov_b32_e32 v3, v9
	v_mov_b32_e32 v4, v10
	v_fmac_f32_e32 v3, 0xbf3504f3, v7
	v_fmac_f32_e32 v4, 0xbf3504f3, v8
	;; [unrolled: 1-line block ×4, first 2 shown]
	v_fma_f32 v5, v5, 2.0, -v17
	v_fma_f32 v6, v6, 2.0, -v18
	;; [unrolled: 1-line block ×4, first 2 shown]
	v_sub_f32_e32 v9, v17, v12
	v_add_f32_e32 v10, v18, v11
	v_mov_b32_e32 v11, v19
	v_mov_b32_e32 v12, v20
	v_sub_f32_e32 v1, v5, v1
	v_sub_f32_e32 v2, v6, v2
	v_fmac_f32_e32 v11, 0x3f3504f3, v16
	v_fmac_f32_e32 v12, 0x3f3504f3, v15
	v_fma_f32 v5, v5, 2.0, -v1
	v_fma_f32 v6, v6, 2.0, -v2
	v_fmac_f32_e32 v11, 0xbf3504f3, v15
	v_fmac_f32_e32 v12, 0x3f3504f3, v16
	v_fma_f32 v13, v17, 2.0, -v9
	v_fma_f32 v14, v18, 2.0, -v10
	;; [unrolled: 1-line block ×4, first 2 shown]
	ds_write_b128 v48, v[5:8]
	ds_write_b128 v48, v[13:16] offset:16
	ds_write_b128 v48, v[1:4] offset:32
	v_and_b32_e32 v1, 7, v0
	v_mad_u64_u32 v[5:6], s[6:7], v1, 56, s[10:11]
	ds_write_b128 v48, v[9:12] offset:48
	s_waitcnt lgkmcnt(0)
	; wave barrier
	s_waitcnt lgkmcnt(0)
	global_load_dwordx4 v[1:4], v[5:6], off
	global_load_dwordx4 v[17:20], v[5:6], off offset:16
	global_load_dwordx4 v[9:12], v[5:6], off offset:32
	global_load_dwordx2 v[42:43], v[5:6], off offset:48
	ds_read2st64_b64 v[5:8], v46 offset1:1
	ds_read2st64_b64 v[13:16], v46 offset0:2 offset1:3
	ds_read2st64_b64 v[21:24], v46 offset0:4 offset1:5
	;; [unrolled: 1-line block ×3, first 2 shown]
	s_waitcnt lgkmcnt(0)
	; wave barrier
	s_waitcnt vmcnt(3) lgkmcnt(0)
	v_mul_f32_e32 v45, v7, v2
	s_waitcnt vmcnt(2)
	v_mul_f32_e32 v55, v15, v18
	v_mul_f32_e32 v47, v14, v4
	;; [unrolled: 1-line block ×5, first 2 shown]
	v_fmac_f32_e32 v55, v16, v17
	s_waitcnt vmcnt(1)
	v_mul_f32_e32 v16, v24, v10
	v_mul_f32_e32 v44, v8, v2
	v_fmac_f32_e32 v45, v8, v1
	v_fma_f32 v8, v13, v3, -v47
	v_fmac_f32_e32 v53, v14, v3
	v_fma_f32 v13, v15, v17, -v54
	v_fma_f32 v14, v21, v19, -v56
	v_mul_f32_e32 v15, v21, v20
	v_fma_f32 v16, v23, v9, -v16
	v_mul_f32_e32 v21, v23, v10
	v_mul_f32_e32 v23, v49, v12
	v_fma_f32 v7, v7, v1, -v44
	v_fmac_f32_e32 v15, v22, v19
	v_fmac_f32_e32 v21, v24, v9
	v_mul_f32_e32 v22, v50, v12
	v_fmac_f32_e32 v23, v50, v11
	s_waitcnt vmcnt(0)
	v_mul_f32_e32 v24, v52, v43
	v_mul_f32_e32 v44, v51, v43
	v_fma_f32 v22, v49, v11, -v22
	v_fma_f32 v24, v51, v42, -v24
	v_fmac_f32_e32 v44, v52, v42
	v_sub_f32_e32 v14, v5, v14
	v_sub_f32_e32 v23, v53, v23
	;; [unrolled: 1-line block ×8, first 2 shown]
	v_fma_f32 v8, v8, 2.0, -v22
	v_fma_f32 v47, v53, 2.0, -v23
	v_sub_f32_e32 v21, v45, v21
	v_fma_f32 v7, v7, 2.0, -v16
	v_fma_f32 v13, v13, 2.0, -v24
	;; [unrolled: 1-line block ×3, first 2 shown]
	v_add_f32_e32 v53, v15, v22
	v_fma_f32 v22, v14, 2.0, -v52
	v_sub_f32_e32 v55, v16, v44
	v_fma_f32 v6, v6, 2.0, -v15
	v_fma_f32 v23, v15, 2.0, -v53
	v_sub_f32_e32 v54, v7, v13
	v_add_f32_e32 v56, v21, v24
	v_fma_f32 v15, v16, 2.0, -v55
	v_mov_b32_e32 v13, v22
	v_fma_f32 v5, v5, 2.0, -v14
	v_fma_f32 v45, v45, 2.0, -v21
	;; [unrolled: 1-line block ×3, first 2 shown]
	v_fmac_f32_e32 v13, 0xbf3504f3, v15
	v_mov_b32_e32 v14, v23
	v_sub_f32_e32 v47, v6, v47
	v_sub_f32_e32 v49, v45, v49
	v_fmac_f32_e32 v14, 0xbf3504f3, v16
	v_fmac_f32_e32 v13, 0xbf3504f3, v16
	v_sub_f32_e32 v50, v5, v8
	v_fma_f32 v51, v6, 2.0, -v47
	v_fma_f32 v6, v45, 2.0, -v49
	v_fmac_f32_e32 v14, 0x3f3504f3, v15
	v_fma_f32 v15, v22, 2.0, -v13
	v_add_f32_e32 v22, v47, v54
	v_mov_b32_e32 v44, v52
	v_mov_b32_e32 v45, v53
	v_fma_f32 v8, v5, 2.0, -v50
	v_fma_f32 v5, v7, 2.0, -v54
	;; [unrolled: 1-line block ×3, first 2 shown]
	v_fmac_f32_e32 v44, 0x3f3504f3, v55
	v_fmac_f32_e32 v45, 0x3f3504f3, v56
	v_or_b32_e32 v47, v46, v0
	v_sub_f32_e32 v5, v8, v5
	v_sub_f32_e32 v6, v51, v6
	;; [unrolled: 1-line block ×3, first 2 shown]
	v_fmac_f32_e32 v44, 0xbf3504f3, v56
	v_fmac_f32_e32 v45, 0x3f3504f3, v55
	v_and_b32_e32 v47, 0x1c7, v47
	v_fma_f32 v7, v8, 2.0, -v5
	v_fma_f32 v8, v51, 2.0, -v6
	;; [unrolled: 1-line block ×6, first 2 shown]
	v_lshlrev_b32_e32 v47, 3, v47
	ds_write2_b64 v47, v[7:8], v[15:16] offset1:8
	ds_write2_b64 v47, v[23:24], v[49:50] offset0:16 offset1:24
	ds_write2_b64 v47, v[5:6], v[13:14] offset0:32 offset1:40
	v_mad_u64_u32 v[49:50], s[6:7], v0, 56, s[10:11]
	ds_write2_b64 v47, v[21:22], v[44:45] offset0:48 offset1:56
	s_waitcnt lgkmcnt(0)
	; wave barrier
	s_waitcnt lgkmcnt(0)
	global_load_dwordx4 v[13:16], v[49:50], off offset:448
	global_load_dwordx4 v[5:8], v[49:50], off offset:464
	;; [unrolled: 1-line block ×3, first 2 shown]
	global_load_dwordx2 v[44:45], v[49:50], off offset:496
	ds_read2st64_b64 v[49:52], v46 offset0:2 offset1:3
	ds_read2st64_b64 v[53:56], v46 offset1:1
	s_movk_i32 s6, 0x1000
	s_waitcnt vmcnt(3) lgkmcnt(1)
	v_mul_f32_e32 v57, v50, v16
	v_fma_f32 v62, v49, v15, -v57
	ds_read2st64_b64 v[57:60], v46 offset0:4 offset1:5
	v_mul_f32_e32 v61, v49, v16
	s_waitcnt vmcnt(2)
	v_mul_f32_e32 v49, v52, v6
	v_mul_f32_e32 v64, v51, v6
	v_fmac_f32_e32 v61, v50, v15
	v_fma_f32 v63, v51, v5, -v49
	v_fmac_f32_e32 v64, v52, v5
	ds_read2st64_b64 v[49:52], v46 offset0:6 offset1:7
	s_waitcnt lgkmcnt(1)
	v_mul_f32_e32 v65, v58, v8
	v_fma_f32 v65, v57, v7, -v65
	v_mul_f32_e32 v57, v57, v8
	v_fmac_f32_e32 v57, v58, v7
	s_waitcnt vmcnt(1)
	v_mul_f32_e32 v58, v60, v22
	v_fma_f32 v58, v59, v21, -v58
	v_mul_f32_e32 v59, v59, v22
	v_fmac_f32_e32 v59, v60, v21
	s_waitcnt lgkmcnt(0)
	v_mul_f32_e32 v60, v50, v24
	v_fma_f32 v60, v49, v23, -v60
	v_mul_f32_e32 v49, v49, v24
	v_fmac_f32_e32 v49, v50, v23
	s_waitcnt vmcnt(0)
	v_mul_f32_e32 v50, v52, v45
	v_fma_f32 v50, v51, v44, -v50
	v_mul_f32_e32 v51, v51, v45
	v_fmac_f32_e32 v51, v52, v44
	v_mul_f32_e32 v52, v56, v14
	v_fma_f32 v52, v55, v13, -v52
	v_mul_f32_e32 v55, v55, v14
	v_fmac_f32_e32 v55, v56, v13
	v_sub_f32_e32 v60, v62, v60
	v_sub_f32_e32 v56, v53, v65
	;; [unrolled: 1-line block ×4, first 2 shown]
	v_fma_f32 v49, v62, 2.0, -v60
	v_sub_f32_e32 v58, v52, v58
	v_sub_f32_e32 v59, v55, v59
	;; [unrolled: 1-line block ×4, first 2 shown]
	v_fma_f32 v53, v53, 2.0, -v56
	v_fma_f32 v54, v54, 2.0, -v57
	;; [unrolled: 1-line block ×7, first 2 shown]
	v_sub_f32_e32 v63, v53, v49
	v_sub_f32_e32 v61, v54, v61
	;; [unrolled: 1-line block ×4, first 2 shown]
	v_fma_f32 v53, v53, 2.0, -v63
	v_fma_f32 v54, v54, 2.0, -v61
	;; [unrolled: 1-line block ×4, first 2 shown]
	v_sub_f32_e32 v65, v56, v65
	v_add_f32_e32 v60, v57, v60
	v_sub_f32_e32 v49, v53, v49
	v_sub_f32_e32 v50, v54, v50
	v_fma_f32 v55, v56, 2.0, -v65
	v_fma_f32 v56, v57, 2.0, -v60
	v_sub_f32_e32 v66, v58, v66
	v_add_f32_e32 v62, v59, v62
	v_fma_f32 v51, v53, 2.0, -v49
	v_fma_f32 v52, v54, 2.0, -v50
	;; [unrolled: 1-line block ×4, first 2 shown]
	v_mov_b32_e32 v53, v55
	v_mov_b32_e32 v54, v56
	v_fmac_f32_e32 v53, 0xbf3504f3, v57
	v_fmac_f32_e32 v54, 0xbf3504f3, v58
	;; [unrolled: 1-line block ×4, first 2 shown]
	v_mov_b32_e32 v57, v65
	v_mov_b32_e32 v58, v60
	v_fma_f32 v55, v55, 2.0, -v53
	v_fma_f32 v56, v56, 2.0, -v54
	v_fmac_f32_e32 v57, 0x3f3504f3, v66
	v_fmac_f32_e32 v58, 0x3f3504f3, v62
	ds_write2st64_b64 v46, v[51:52], v[55:56] offset1:1
	v_sub_f32_e32 v51, v63, v67
	v_add_f32_e32 v52, v61, v64
	v_fmac_f32_e32 v57, 0xbf3504f3, v62
	v_fmac_f32_e32 v58, 0x3f3504f3, v66
	v_fma_f32 v55, v63, 2.0, -v51
	v_fma_f32 v56, v61, 2.0, -v52
	;; [unrolled: 1-line block ×4, first 2 shown]
	ds_write2st64_b64 v46, v[55:56], v[59:60] offset0:2 offset1:3
	v_mov_b32_e32 v55, s9
	v_add_co_u32_e32 v56, vcc, s8, v46
	v_addc_co_u32_e32 v55, vcc, 0, v55, vcc
	ds_write2st64_b64 v46, v[49:50], v[53:54] offset0:4 offset1:5
	ds_write2st64_b64 v46, v[51:52], v[57:58] offset0:6 offset1:7
	v_add_co_u32_e32 v49, vcc, s6, v56
	v_addc_co_u32_e32 v50, vcc, 0, v55, vcc
	s_waitcnt lgkmcnt(0)
	; wave barrier
	s_waitcnt lgkmcnt(0)
	global_load_dwordx2 v[57:58], v[49:50], off
	global_load_dwordx2 v[59:60], v[49:50], off offset:512
	global_load_dwordx2 v[61:62], v[49:50], off offset:1024
	;; [unrolled: 1-line block ×7, first 2 shown]
	ds_read2st64_b64 v[49:52], v46 offset1:1
	ds_read2st64_b64 v[53:56], v46 offset0:2 offset1:3
	s_waitcnt vmcnt(7) lgkmcnt(1)
	v_mul_f32_e32 v73, v50, v58
	v_fma_f32 v73, v49, v57, -v73
	v_mul_f32_e32 v74, v49, v58
	s_waitcnt vmcnt(6)
	v_mul_f32_e32 v49, v52, v60
	v_fmac_f32_e32 v74, v50, v57
	v_fma_f32 v57, v51, v59, -v49
	v_mul_f32_e32 v58, v51, v60
	s_waitcnt vmcnt(5) lgkmcnt(0)
	v_mul_f32_e32 v49, v54, v62
	v_fmac_f32_e32 v58, v52, v59
	v_fma_f32 v59, v53, v61, -v49
	ds_read2st64_b64 v[49:52], v46 offset0:4 offset1:5
	v_mul_f32_e32 v60, v53, v62
	s_waitcnt vmcnt(4)
	v_mul_f32_e32 v53, v56, v64
	v_mul_f32_e32 v62, v55, v64
	v_fmac_f32_e32 v60, v54, v61
	v_fma_f32 v61, v55, v63, -v53
	v_fmac_f32_e32 v62, v56, v63
	ds_read2st64_b64 v[53:56], v46 offset0:6 offset1:7
	s_waitcnt vmcnt(3) lgkmcnt(1)
	v_mul_f32_e32 v63, v50, v66
	v_mul_f32_e32 v64, v49, v66
	v_fma_f32 v63, v49, v65, -v63
	v_fmac_f32_e32 v64, v50, v65
	s_waitcnt vmcnt(2)
	v_mul_f32_e32 v49, v52, v68
	v_mul_f32_e32 v50, v51, v68
	v_fma_f32 v49, v51, v67, -v49
	v_fmac_f32_e32 v50, v52, v67
	ds_write2st64_b64 v46, v[73:74], v[57:58] offset1:1
	ds_write2st64_b64 v46, v[59:60], v[61:62] offset0:2 offset1:3
	ds_write2st64_b64 v46, v[63:64], v[49:50] offset0:4 offset1:5
	s_waitcnt vmcnt(1) lgkmcnt(3)
	v_mul_f32_e32 v49, v54, v70
	v_mul_f32_e32 v50, v53, v70
	s_waitcnt vmcnt(0)
	v_mul_f32_e32 v51, v56, v72
	v_mul_f32_e32 v52, v55, v72
	v_fma_f32 v49, v53, v69, -v49
	v_fmac_f32_e32 v50, v54, v69
	v_fma_f32 v51, v55, v71, -v51
	v_fmac_f32_e32 v52, v56, v71
	ds_write2st64_b64 v46, v[49:50], v[51:52] offset0:6 offset1:7
	s_waitcnt lgkmcnt(0)
	; wave barrier
	s_waitcnt lgkmcnt(0)
	ds_read2st64_b64 v[49:52], v46 offset0:4 offset1:5
	ds_read2st64_b64 v[53:56], v46 offset1:1
	ds_read2st64_b64 v[57:60], v46 offset0:2 offset1:3
	ds_read2st64_b64 v[61:64], v46 offset0:6 offset1:7
	s_waitcnt lgkmcnt(0)
	; wave barrier
	s_waitcnt lgkmcnt(0)
	v_sub_f32_e32 v65, v53, v49
	v_sub_f32_e32 v66, v54, v50
	v_sub_f32_e32 v51, v55, v51
	v_sub_f32_e32 v52, v56, v52
	v_fma_f32 v49, v53, 2.0, -v65
	v_fma_f32 v50, v54, 2.0, -v66
	v_fma_f32 v53, v55, 2.0, -v51
	v_fma_f32 v54, v56, 2.0, -v52
	v_sub_f32_e32 v55, v57, v61
	v_sub_f32_e32 v56, v58, v62
	v_sub_f32_e32 v61, v59, v63
	v_sub_f32_e32 v62, v60, v64
	v_fma_f32 v57, v57, 2.0, -v55
	v_fma_f32 v58, v58, 2.0, -v56
	v_fma_f32 v59, v59, 2.0, -v61
	v_fma_f32 v60, v60, 2.0, -v62
	;; [unrolled: 8-line block ×3, first 2 shown]
	v_sub_f32_e32 v49, v63, v49
	v_sub_f32_e32 v50, v64, v50
	v_fma_f32 v53, v63, 2.0, -v49
	v_fma_f32 v54, v64, 2.0, -v50
	v_add_f32_e32 v63, v65, v56
	v_sub_f32_e32 v64, v66, v55
	v_fma_f32 v55, v65, 2.0, -v63
	v_fma_f32 v56, v66, 2.0, -v64
	v_add_f32_e32 v62, v51, v62
	v_sub_f32_e32 v61, v52, v61
	v_fma_f32 v65, v51, 2.0, -v62
	v_fma_f32 v66, v52, 2.0, -v61
	v_mov_b32_e32 v51, v55
	v_mov_b32_e32 v52, v56
	v_fmac_f32_e32 v51, 0xbf3504f3, v65
	v_fmac_f32_e32 v52, 0xbf3504f3, v66
	;; [unrolled: 1-line block ×4, first 2 shown]
	v_fma_f32 v55, v55, 2.0, -v51
	v_fma_f32 v56, v56, 2.0, -v52
	ds_write_b128 v48, v[53:56]
	v_mov_b32_e32 v55, v63
	v_mov_b32_e32 v56, v64
	v_fmac_f32_e32 v55, 0x3f3504f3, v62
	v_fmac_f32_e32 v56, 0x3f3504f3, v61
	v_add_f32_e32 v53, v57, v60
	v_sub_f32_e32 v54, v58, v59
	v_fmac_f32_e32 v55, 0x3f3504f3, v61
	v_fmac_f32_e32 v56, 0xbf3504f3, v62
	v_fma_f32 v57, v57, 2.0, -v53
	v_fma_f32 v58, v58, 2.0, -v54
	v_fma_f32 v59, v63, 2.0, -v55
	v_fma_f32 v60, v64, 2.0, -v56
	ds_write_b128 v48, v[57:60] offset:16
	ds_write_b128 v48, v[49:52] offset:32
	;; [unrolled: 1-line block ×3, first 2 shown]
	s_waitcnt lgkmcnt(0)
	; wave barrier
	s_waitcnt lgkmcnt(0)
	ds_read2st64_b64 v[48:51], v46 offset0:2 offset1:3
	ds_read2st64_b64 v[52:55], v46 offset1:1
	ds_read2st64_b64 v[56:59], v46 offset0:4 offset1:5
	ds_read2st64_b64 v[60:63], v46 offset0:6 offset1:7
	s_waitcnt lgkmcnt(0)
	v_mul_f32_e32 v64, v18, v51
	v_mul_f32_e32 v18, v18, v50
	v_fmac_f32_e32 v64, v17, v50
	v_fma_f32 v17, v17, v51, -v18
	v_mul_f32_e32 v18, v20, v57
	v_mul_f32_e32 v20, v20, v56
	v_fmac_f32_e32 v18, v19, v56
	v_fma_f32 v19, v19, v57, -v20
	v_mul_f32_e32 v20, v10, v59
	v_mul_f32_e32 v10, v10, v58
	v_fmac_f32_e32 v20, v9, v58
	v_fma_f32 v10, v9, v59, -v10
	v_mul_f32_e32 v50, v12, v61
	v_mul_f32_e32 v9, v12, v60
	v_fmac_f32_e32 v50, v11, v60
	v_fma_f32 v11, v11, v61, -v9
	v_mul_f32_e32 v12, v43, v63
	v_mul_f32_e32 v9, v43, v62
	v_fmac_f32_e32 v12, v42, v62
	v_fma_f32 v51, v42, v63, -v9
	v_mad_u64_u32 v[42:43], s[6:7], s2, v41, 0
	v_mul_f32_e32 v56, v4, v49
	v_mul_f32_e32 v4, v4, v48
	v_fmac_f32_e32 v56, v3, v48
	v_fma_f32 v3, v3, v49, -v4
	v_mul_f32_e32 v4, v2, v55
	v_mul_f32_e32 v2, v2, v54
	v_fmac_f32_e32 v4, v1, v54
	v_fma_f32 v1, v1, v55, -v2
	v_sub_f32_e32 v2, v52, v18
	v_sub_f32_e32 v18, v53, v19
	;; [unrolled: 1-line block ×4, first 2 shown]
	v_mov_b32_e32 v9, v43
	v_fma_f32 v19, v52, 2.0, -v2
	v_fma_f32 v43, v53, 2.0, -v18
	;; [unrolled: 1-line block ×4, first 2 shown]
	v_sub_f32_e32 v49, v19, v49
	v_sub_f32_e32 v52, v43, v3
	;; [unrolled: 1-line block ×6, first 2 shown]
	v_fma_f32 v3, v19, 2.0, -v49
	v_fma_f32 v19, v43, 2.0, -v52
	v_add_f32_e32 v43, v2, v11
	v_fma_f32 v1, v1, 2.0, -v10
	v_fma_f32 v51, v64, 2.0, -v12
	;; [unrolled: 1-line block ×3, first 2 shown]
	v_sub_f32_e32 v53, v18, v48
	v_fma_f32 v48, v2, 2.0, -v43
	v_add_f32_e32 v55, v20, v50
	v_sub_f32_e32 v12, v10, v12
	v_fma_f32 v4, v4, 2.0, -v20
	v_fma_f32 v18, v18, 2.0, -v53
	v_sub_f32_e32 v54, v1, v17
	v_fma_f32 v17, v20, 2.0, -v55
	v_fma_f32 v20, v10, 2.0, -v12
	v_mov_b32_e32 v10, v48
	v_sub_f32_e32 v51, v4, v51
	v_fmac_f32_e32 v10, 0xbf3504f3, v17
	v_mov_b32_e32 v11, v18
	v_fma_f32 v2, v4, 2.0, -v51
	v_fma_f32 v4, v1, 2.0, -v54
	v_fmac_f32_e32 v11, 0xbf3504f3, v20
	v_fmac_f32_e32 v10, 0x3f3504f3, v20
	v_sub_f32_e32 v20, v52, v51
	v_mov_b32_e32 v50, v43
	v_mov_b32_e32 v51, v53
	v_sub_f32_e32 v1, v3, v2
	v_sub_f32_e32 v2, v19, v4
	v_fmac_f32_e32 v11, 0xbf3504f3, v17
	v_fmac_f32_e32 v50, 0x3f3504f3, v55
	;; [unrolled: 1-line block ×3, first 2 shown]
	v_fma_f32 v3, v3, 2.0, -v1
	v_fma_f32 v4, v19, 2.0, -v2
	;; [unrolled: 1-line block ×4, first 2 shown]
	v_add_f32_e32 v19, v49, v54
	v_fmac_f32_e32 v50, 0x3f3504f3, v12
	v_fmac_f32_e32 v51, 0xbf3504f3, v55
	v_fma_f32 v48, v49, 2.0, -v19
	v_fma_f32 v49, v52, 2.0, -v20
	;; [unrolled: 1-line block ×4, first 2 shown]
	; wave barrier
	ds_write2_b64 v47, v[3:4], v[17:18] offset1:8
	ds_write2_b64 v47, v[48:49], v[52:53] offset0:16 offset1:24
	ds_write2_b64 v47, v[1:2], v[10:11] offset0:32 offset1:40
	;; [unrolled: 1-line block ×3, first 2 shown]
	s_waitcnt lgkmcnt(0)
	; wave barrier
	s_waitcnt lgkmcnt(0)
	ds_read2st64_b64 v[1:4], v46 offset1:1
	v_mad_u64_u32 v[51:52], s[2:3], s3, v41, v[9:10]
	ds_read2st64_b64 v[9:12], v46 offset0:2 offset1:3
	ds_read2st64_b64 v[17:20], v46 offset0:4 offset1:5
	;; [unrolled: 1-line block ×3, first 2 shown]
	s_waitcnt lgkmcnt(3)
	v_mul_f32_e32 v41, v14, v4
	v_fmac_f32_e32 v41, v13, v3
	v_mul_f32_e32 v3, v14, v3
	v_fma_f32 v3, v13, v4, -v3
	s_waitcnt lgkmcnt(2)
	v_mul_f32_e32 v4, v16, v10
	v_fmac_f32_e32 v4, v15, v9
	v_mul_f32_e32 v9, v16, v9
	v_fma_f32 v9, v15, v10, -v9
	v_mul_f32_e32 v10, v6, v12
	v_mul_f32_e32 v6, v6, v11
	v_fmac_f32_e32 v10, v5, v11
	v_fma_f32 v5, v5, v12, -v6
	s_waitcnt lgkmcnt(1)
	v_mul_f32_e32 v6, v8, v18
	v_mul_f32_e32 v8, v8, v17
	v_fmac_f32_e32 v6, v7, v17
	v_fma_f32 v7, v7, v18, -v8
	v_mul_f32_e32 v8, v22, v20
	s_waitcnt lgkmcnt(0)
	v_mul_f32_e32 v12, v24, v48
	v_mul_f32_e32 v14, v45, v50
	v_fmac_f32_e32 v8, v21, v19
	v_fmac_f32_e32 v12, v23, v47
	;; [unrolled: 1-line block ×3, first 2 shown]
	v_mul_f32_e32 v11, v22, v19
	v_mul_f32_e32 v13, v24, v47
	;; [unrolled: 1-line block ×3, first 2 shown]
	v_sub_f32_e32 v6, v1, v6
	v_sub_f32_e32 v12, v4, v12
	;; [unrolled: 1-line block ×4, first 2 shown]
	v_fma_f32 v11, v21, v20, -v11
	v_fma_f32 v13, v23, v48, -v13
	;; [unrolled: 1-line block ×3, first 2 shown]
	v_sub_f32_e32 v7, v2, v7
	v_fma_f32 v1, v1, 2.0, -v6
	v_fma_f32 v4, v4, 2.0, -v12
	;; [unrolled: 1-line block ×4, first 2 shown]
	v_sub_f32_e32 v13, v9, v13
	v_sub_f32_e32 v11, v3, v11
	;; [unrolled: 1-line block ×6, first 2 shown]
	v_fma_f32 v9, v9, 2.0, -v13
	v_fma_f32 v5, v5, 2.0, -v15
	;; [unrolled: 1-line block ×3, first 2 shown]
	v_add_f32_e32 v19, v6, v13
	v_fma_f32 v13, v7, 2.0, -v20
	v_fma_f32 v1, v16, 2.0, -v10
	v_add_f32_e32 v15, v8, v15
	v_sub_f32_e32 v16, v11, v14
	v_fma_f32 v2, v2, 2.0, -v7
	v_fma_f32 v3, v3, 2.0, -v11
	;; [unrolled: 1-line block ×5, first 2 shown]
	v_mov_b32_e32 v6, v13
	v_sub_f32_e32 v21, v3, v5
	v_mov_b32_e32 v5, v12
	v_fmac_f32_e32 v6, 0xbf3504f3, v8
	v_sub_f32_e32 v18, v2, v9
	v_fmac_f32_e32 v5, 0xbf3504f3, v7
	v_fmac_f32_e32 v6, 0xbf3504f3, v7
	v_fma_f32 v9, v2, 2.0, -v18
	v_fma_f32 v2, v3, 2.0, -v21
	v_fmac_f32_e32 v5, 0x3f3504f3, v8
	v_fma_f32 v8, v13, 2.0, -v6
	v_mov_b32_e32 v13, v19
	v_mov_b32_e32 v14, v20
	v_sub_f32_e32 v1, v4, v1
	v_sub_f32_e32 v2, v9, v2
	v_fmac_f32_e32 v13, 0x3f3504f3, v15
	v_fmac_f32_e32 v14, 0x3f3504f3, v16
	v_fma_f32 v3, v4, 2.0, -v1
	v_fma_f32 v4, v9, 2.0, -v2
	;; [unrolled: 1-line block ×3, first 2 shown]
	v_add_f32_e32 v9, v17, v21
	v_sub_f32_e32 v10, v18, v10
	v_fmac_f32_e32 v13, 0x3f3504f3, v16
	v_fmac_f32_e32 v14, 0xbf3504f3, v15
	v_fma_f32 v11, v17, 2.0, -v9
	v_fma_f32 v12, v18, 2.0, -v10
	;; [unrolled: 1-line block ×4, first 2 shown]
	ds_write2st64_b64 v46, v[3:4], v[7:8] offset1:1
	ds_write2st64_b64 v46, v[11:12], v[15:16] offset0:2 offset1:3
	ds_write2st64_b64 v46, v[1:2], v[5:6] offset0:4 offset1:5
	ds_write2st64_b64 v46, v[9:10], v[13:14] offset0:6 offset1:7
	s_waitcnt lgkmcnt(0)
	; wave barrier
	s_waitcnt lgkmcnt(0)
	ds_read2st64_b64 v[1:4], v46 offset1:1
	ds_read2st64_b64 v[5:8], v46 offset0:2 offset1:3
	v_mad_u64_u32 v[9:10], s[2:3], s0, v0, 0
	v_mov_b32_e32 v43, v51
	s_waitcnt lgkmcnt(1)
	v_mul_f32_e32 v11, v34, v2
	v_fmac_f32_e32 v11, v33, v1
	v_mul_f32_e32 v11, 0x3b000000, v11
	v_mad_u64_u32 v[13:14], s[2:3], s1, v0, v[10:11]
	v_mul_f32_e32 v0, v34, v1
	v_fma_f32 v0, v33, v2, -v0
	v_mul_f32_e32 v12, 0x3b000000, v0
	v_lshlrev_b64 v[0:1], 3, v[42:43]
	v_mov_b32_e32 v10, v13
	v_mov_b32_e32 v2, s5
	v_add_co_u32_e32 v13, vcc, s4, v0
	v_addc_co_u32_e32 v2, vcc, v2, v1, vcc
	v_lshlrev_b64 v[0:1], 3, v[9:10]
	s_lshl_b64 s[0:1], s[0:1], 9
	v_add_co_u32_e32 v0, vcc, v13, v0
	v_addc_co_u32_e32 v1, vcc, v2, v1, vcc
	v_mul_f32_e32 v2, v40, v4
	v_fmac_f32_e32 v2, v39, v3
	v_mul_f32_e32 v3, v40, v3
	global_store_dwordx2 v[0:1], v[11:12], off
	v_fma_f32 v3, v39, v4, -v3
	v_mov_b32_e32 v12, s1
	v_add_co_u32_e32 v0, vcc, s0, v0
	v_mul_f32_e32 v2, 0x3b000000, v2
	v_mul_f32_e32 v3, 0x3b000000, v3
	v_addc_co_u32_e32 v1, vcc, v1, v12, vcc
	global_store_dwordx2 v[0:1], v[2:3], off
	v_add_co_u32_e32 v4, vcc, s0, v0
	s_waitcnt lgkmcnt(0)
	v_mul_f32_e32 v0, v36, v8
	v_mul_f32_e32 v2, v38, v6
	;; [unrolled: 1-line block ×3, first 2 shown]
	v_fmac_f32_e32 v0, v35, v7
	v_fmac_f32_e32 v2, v37, v5
	v_fma_f32 v3, v37, v6, -v3
	v_mul_f32_e32 v6, 0x3b000000, v0
	v_mul_f32_e32 v0, v36, v7
	;; [unrolled: 1-line block ×4, first 2 shown]
	v_addc_co_u32_e32 v5, vcc, v1, v12, vcc
	v_fma_f32 v0, v35, v8, -v0
	global_store_dwordx2 v[4:5], v[2:3], off
	v_mul_f32_e32 v7, 0x3b000000, v0
	ds_read2st64_b64 v[0:3], v46 offset0:4 offset1:5
	v_add_co_u32_e32 v8, vcc, s0, v4
	v_addc_co_u32_e32 v9, vcc, v5, v12, vcc
	global_store_dwordx2 v[8:9], v[6:7], off
	ds_read2st64_b64 v[4:7], v46 offset0:6 offset1:7
	s_waitcnt lgkmcnt(1)
	v_mul_f32_e32 v10, v32, v1
	v_fmac_f32_e32 v10, v31, v0
	v_mul_f32_e32 v0, v32, v0
	v_fma_f32 v0, v31, v1, -v0
	v_mul_f32_e32 v11, 0x3b000000, v0
	v_add_co_u32_e32 v0, vcc, s0, v8
	v_mul_f32_e32 v8, v26, v3
	v_mul_f32_e32 v10, 0x3b000000, v10
	v_addc_co_u32_e32 v1, vcc, v9, v12, vcc
	v_fmac_f32_e32 v8, v25, v2
	v_mul_f32_e32 v2, v26, v2
	global_store_dwordx2 v[0:1], v[10:11], off
	v_fma_f32 v2, v25, v3, -v2
	v_add_co_u32_e32 v0, vcc, s0, v0
	v_mul_f32_e32 v8, 0x3b000000, v8
	v_mul_f32_e32 v9, 0x3b000000, v2
	v_addc_co_u32_e32 v1, vcc, v1, v12, vcc
	s_waitcnt lgkmcnt(0)
	v_mul_f32_e32 v2, v30, v5
	v_mul_f32_e32 v3, v30, v4
	global_store_dwordx2 v[0:1], v[8:9], off
	v_fmac_f32_e32 v2, v29, v4
	v_fma_f32 v3, v29, v5, -v3
	v_add_co_u32_e32 v0, vcc, s0, v0
	v_mul_f32_e32 v2, 0x3b000000, v2
	v_mul_f32_e32 v3, 0x3b000000, v3
	v_addc_co_u32_e32 v1, vcc, v1, v12, vcc
	global_store_dwordx2 v[0:1], v[2:3], off
	v_mul_f32_e32 v2, v28, v7
	v_mul_f32_e32 v3, v28, v6
	v_fmac_f32_e32 v2, v27, v6
	v_fma_f32 v3, v27, v7, -v3
	v_add_co_u32_e32 v0, vcc, s0, v0
	v_mul_f32_e32 v2, 0x3b000000, v2
	v_mul_f32_e32 v3, 0x3b000000, v3
	v_addc_co_u32_e32 v1, vcc, v1, v12, vcc
	global_store_dwordx2 v[0:1], v[2:3], off
.LBB0_2:
	s_endpgm
	.section	.rodata,"a",@progbits
	.p2align	6, 0x0
	.amdhsa_kernel bluestein_single_back_len512_dim1_sp_op_CI_CI
		.amdhsa_group_segment_fixed_size 4096
		.amdhsa_private_segment_fixed_size 0
		.amdhsa_kernarg_size 104
		.amdhsa_user_sgpr_count 6
		.amdhsa_user_sgpr_private_segment_buffer 1
		.amdhsa_user_sgpr_dispatch_ptr 0
		.amdhsa_user_sgpr_queue_ptr 0
		.amdhsa_user_sgpr_kernarg_segment_ptr 1
		.amdhsa_user_sgpr_dispatch_id 0
		.amdhsa_user_sgpr_flat_scratch_init 0
		.amdhsa_user_sgpr_private_segment_size 0
		.amdhsa_uses_dynamic_stack 0
		.amdhsa_system_sgpr_private_segment_wavefront_offset 0
		.amdhsa_system_sgpr_workgroup_id_x 1
		.amdhsa_system_sgpr_workgroup_id_y 0
		.amdhsa_system_sgpr_workgroup_id_z 0
		.amdhsa_system_sgpr_workgroup_info 0
		.amdhsa_system_vgpr_workitem_id 0
		.amdhsa_next_free_vgpr 75
		.amdhsa_next_free_sgpr 20
		.amdhsa_reserve_vcc 1
		.amdhsa_reserve_flat_scratch 0
		.amdhsa_float_round_mode_32 0
		.amdhsa_float_round_mode_16_64 0
		.amdhsa_float_denorm_mode_32 3
		.amdhsa_float_denorm_mode_16_64 3
		.amdhsa_dx10_clamp 1
		.amdhsa_ieee_mode 1
		.amdhsa_fp16_overflow 0
		.amdhsa_exception_fp_ieee_invalid_op 0
		.amdhsa_exception_fp_denorm_src 0
		.amdhsa_exception_fp_ieee_div_zero 0
		.amdhsa_exception_fp_ieee_overflow 0
		.amdhsa_exception_fp_ieee_underflow 0
		.amdhsa_exception_fp_ieee_inexact 0
		.amdhsa_exception_int_div_zero 0
	.end_amdhsa_kernel
	.text
.Lfunc_end0:
	.size	bluestein_single_back_len512_dim1_sp_op_CI_CI, .Lfunc_end0-bluestein_single_back_len512_dim1_sp_op_CI_CI
                                        ; -- End function
	.section	.AMDGPU.csdata,"",@progbits
; Kernel info:
; codeLenInByte = 4784
; NumSgprs: 24
; NumVgprs: 75
; ScratchSize: 0
; MemoryBound: 0
; FloatMode: 240
; IeeeMode: 1
; LDSByteSize: 4096 bytes/workgroup (compile time only)
; SGPRBlocks: 2
; VGPRBlocks: 18
; NumSGPRsForWavesPerEU: 24
; NumVGPRsForWavesPerEU: 75
; Occupancy: 3
; WaveLimiterHint : 1
; COMPUTE_PGM_RSRC2:SCRATCH_EN: 0
; COMPUTE_PGM_RSRC2:USER_SGPR: 6
; COMPUTE_PGM_RSRC2:TRAP_HANDLER: 0
; COMPUTE_PGM_RSRC2:TGID_X_EN: 1
; COMPUTE_PGM_RSRC2:TGID_Y_EN: 0
; COMPUTE_PGM_RSRC2:TGID_Z_EN: 0
; COMPUTE_PGM_RSRC2:TIDIG_COMP_CNT: 0
	.type	__hip_cuid_25f26d19e6364bbd,@object ; @__hip_cuid_25f26d19e6364bbd
	.section	.bss,"aw",@nobits
	.globl	__hip_cuid_25f26d19e6364bbd
__hip_cuid_25f26d19e6364bbd:
	.byte	0                               ; 0x0
	.size	__hip_cuid_25f26d19e6364bbd, 1

	.ident	"AMD clang version 19.0.0git (https://github.com/RadeonOpenCompute/llvm-project roc-6.4.0 25133 c7fe45cf4b819c5991fe208aaa96edf142730f1d)"
	.section	".note.GNU-stack","",@progbits
	.addrsig
	.addrsig_sym __hip_cuid_25f26d19e6364bbd
	.amdgpu_metadata
---
amdhsa.kernels:
  - .args:
      - .actual_access:  read_only
        .address_space:  global
        .offset:         0
        .size:           8
        .value_kind:     global_buffer
      - .actual_access:  read_only
        .address_space:  global
        .offset:         8
        .size:           8
        .value_kind:     global_buffer
      - .actual_access:  read_only
        .address_space:  global
        .offset:         16
        .size:           8
        .value_kind:     global_buffer
      - .actual_access:  read_only
        .address_space:  global
        .offset:         24
        .size:           8
        .value_kind:     global_buffer
      - .actual_access:  read_only
        .address_space:  global
        .offset:         32
        .size:           8
        .value_kind:     global_buffer
      - .offset:         40
        .size:           8
        .value_kind:     by_value
      - .address_space:  global
        .offset:         48
        .size:           8
        .value_kind:     global_buffer
      - .address_space:  global
        .offset:         56
        .size:           8
        .value_kind:     global_buffer
      - .address_space:  global
        .offset:         64
        .size:           8
        .value_kind:     global_buffer
      - .address_space:  global
        .offset:         72
        .size:           8
        .value_kind:     global_buffer
      - .offset:         80
        .size:           4
        .value_kind:     by_value
      - .address_space:  global
        .offset:         88
        .size:           8
        .value_kind:     global_buffer
      - .address_space:  global
        .offset:         96
        .size:           8
        .value_kind:     global_buffer
    .group_segment_fixed_size: 4096
    .kernarg_segment_align: 8
    .kernarg_segment_size: 104
    .language:       OpenCL C
    .language_version:
      - 2
      - 0
    .max_flat_workgroup_size: 64
    .name:           bluestein_single_back_len512_dim1_sp_op_CI_CI
    .private_segment_fixed_size: 0
    .sgpr_count:     24
    .sgpr_spill_count: 0
    .symbol:         bluestein_single_back_len512_dim1_sp_op_CI_CI.kd
    .uniform_work_group_size: 1
    .uses_dynamic_stack: false
    .vgpr_count:     75
    .vgpr_spill_count: 0
    .wavefront_size: 64
amdhsa.target:   amdgcn-amd-amdhsa--gfx906
amdhsa.version:
  - 1
  - 2
...

	.end_amdgpu_metadata
